;; amdgpu-corpus repo=ROCm/rocFFT kind=compiled arch=gfx1201 opt=O3
	.text
	.amdgcn_target "amdgcn-amd-amdhsa--gfx1201"
	.amdhsa_code_object_version 6
	.protected	fft_rtc_fwd_len121_factors_11_11_wgs_121_tpt_11_sp_op_CI_CI_sbrc_erc_z_xy_unaligned ; -- Begin function fft_rtc_fwd_len121_factors_11_11_wgs_121_tpt_11_sp_op_CI_CI_sbrc_erc_z_xy_unaligned
	.globl	fft_rtc_fwd_len121_factors_11_11_wgs_121_tpt_11_sp_op_CI_CI_sbrc_erc_z_xy_unaligned
	.p2align	8
	.type	fft_rtc_fwd_len121_factors_11_11_wgs_121_tpt_11_sp_op_CI_CI_sbrc_erc_z_xy_unaligned,@function
fft_rtc_fwd_len121_factors_11_11_wgs_121_tpt_11_sp_op_CI_CI_sbrc_erc_z_xy_unaligned: ; @fft_rtc_fwd_len121_factors_11_11_wgs_121_tpt_11_sp_op_CI_CI_sbrc_erc_z_xy_unaligned
; %bb.0:
	s_clause 0x1
	s_load_b256 s[4:11], s[0:1], 0x0
	s_load_b64 s[20:21], s[0:1], 0x20
	s_wait_kmcnt 0x0
	s_load_b128 s[12:15], s[8:9], 0x8
	s_load_b32 s28, s[10:11], 0x10
	s_wait_kmcnt 0x0
	s_add_co_i32 s2, s12, -1
	s_delay_alu instid0(SALU_CYCLE_1) | instskip(NEXT) | instid1(SALU_CYCLE_1)
	s_mul_hi_u32 s2, s2, 0xba2e8ba3
	s_lshr_b32 s2, s2, 3
	s_delay_alu instid0(SALU_CYCLE_1) | instskip(NEXT) | instid1(SALU_CYCLE_1)
	s_add_co_i32 s3, s2, 1
	s_mul_i32 s8, s3, s14
	s_cvt_f32_u32 s13, s3
	s_cvt_f32_u32 s9, s8
	s_sub_co_i32 s14, 0, s8
	s_delay_alu instid0(SALU_CYCLE_2) | instskip(NEXT) | instid1(TRANS32_DEP_1)
	v_rcp_iflag_f32_e32 v1, s9
	v_readfirstlane_b32 s9, v1
	v_rcp_iflag_f32_e32 v1, s13
	s_delay_alu instid0(VALU_DEP_1) | instskip(SKIP_1) | instid1(SALU_CYCLE_2)
	s_mul_f32 s9, s9, 0x4f7ffffe
	s_wait_alu 0xfffe
	s_cvt_u32_f32 s9, s9
	s_wait_alu 0xfffe
	s_delay_alu instid0(SALU_CYCLE_2) | instskip(NEXT) | instid1(SALU_CYCLE_1)
	s_mul_i32 s14, s14, s9
	s_mul_hi_u32 s13, s9, s14
	s_delay_alu instid0(TRANS32_DEP_1)
	v_readfirstlane_b32 s14, v1
	s_wait_alu 0xfffe
	s_add_co_i32 s9, s9, s13
	v_mul_u32_u24_e32 v1, 0x21e, v0
	s_wait_alu 0xfffe
	s_mul_hi_u32 s9, ttmp9, s9
	s_mul_f32 s14, s14, 0x4f7ffffe
	s_wait_alu 0xfffe
	s_mul_i32 s13, s9, s8
	s_add_co_i32 s15, s9, 1
	s_wait_alu 0xfffe
	s_sub_co_i32 s13, ttmp9, s13
	v_lshrrev_b32_e32 v1, 16, v1
	s_wait_alu 0xfffe
	s_sub_co_i32 s16, s13, s8
	s_cmp_ge_u32 s13, s8
	s_cselect_b32 s9, s15, s9
	s_cselect_b32 s13, s16, s13
	s_wait_alu 0xfffe
	s_add_co_i32 s15, s9, 1
	s_cmp_ge_u32 s13, s8
	s_cvt_u32_f32 s13, s14
	s_cselect_b32 s14, s15, s9
	s_not_b32 s2, s2
	s_mul_i32 s8, s14, s8
	s_wait_alu 0xfffe
	s_mul_i32 s2, s2, s13
	s_sub_co_i32 s8, ttmp9, s8
	s_mul_hi_u32 s2, s13, s2
	s_load_b128 s[16:19], s[10:11], 0x0
	s_add_co_i32 s13, s13, s2
	v_mul_lo_u16 v2, 0x79, v1
	s_wait_alu 0xfffe
	s_mul_hi_u32 s2, s8, s13
	s_mul_hi_u32 s13, ttmp9, s13
	s_mul_i32 s9, s2, s3
	s_wait_alu 0xfffe
	s_sub_co_i32 s8, s8, s9
	s_add_co_i32 s9, s2, 1
	s_wait_alu 0xfffe
	s_sub_co_i32 s15, s8, s3
	s_cmp_ge_u32 s8, s3
	v_sub_nc_u16 v2, v0, v2
	s_cselect_b32 s2, s9, s2
	s_cselect_b32 s8, s15, s8
	s_add_co_i32 s9, s2, 1
	s_wait_alu 0xfffe
	s_cmp_ge_u32 s8, s3
	s_mul_i32 s8, s13, s3
	s_cselect_b32 s13, s9, s2
	s_wait_alu 0xfffe
	s_sub_co_i32 s2, ttmp9, s8
	s_mov_b32 s15, 0
	s_sub_co_i32 s8, s2, s3
	s_cmp_ge_u32 s2, s3
	v_and_b32_e32 v2, 0xffff, v2
	s_wait_alu 0xfffe
	s_cselect_b32 s2, s8, s2
	s_mov_b32 s29, s15
	s_sub_co_i32 s8, s2, s3
	s_cmp_ge_u32 s2, s3
	s_wait_kmcnt 0x0
	s_wait_alu 0xfffe
	s_cselect_b32 s19, s8, s2
	s_lshl_b64 s[24:25], s[6:7], 3
	s_mul_i32 s6, s19, 11
	s_add_nc_u64 s[2:3], s[10:11], s[24:25]
	s_add_co_i32 s19, s6, 11
	s_load_b64 s[26:27], s[2:3], 0x0
	s_load_b64 s[22:23], s[0:1], 0x58
	s_clause 0x1
	s_load_b128 s[8:11], s[20:21], 0x0
	s_load_b64 s[2:3], s[20:21], 0x10
	s_wait_kmcnt 0x0
	s_mul_i32 s3, s13, s28
	s_mul_i32 s11, s6, s18
	s_add_nc_u64 s[20:21], s[20:21], s[24:25]
	s_add_co_i32 s28, s11, s3
	s_cmp_le_u32 s19, s12
	s_mov_b32 s7, -1
	s_cselect_b32 s3, -1, 0
	s_delay_alu instid0(SALU_CYCLE_1) | instskip(SKIP_1) | instid1(SALU_CYCLE_1)
	s_and_b32 vcc_lo, exec_lo, s3
	s_mul_u64 s[24:25], s[26:27], s[14:15]
	s_add_nc_u64 s[24:25], s[24:25], s[28:29]
	s_cbranch_vccz .LBB0_2
; %bb.1:
	v_mul_lo_u32 v5, s18, v1
	v_mov_b32_e32 v6, 0
	v_mad_co_u64_u32 v[3:4], null, s16, v2, 0
	s_lshl_b64 s[26:27], s[24:25], 3
	s_mov_b32 s7, s15
	s_add_nc_u64 s[26:27], s[22:23], s[26:27]
	s_delay_alu instid0(VALU_DEP_3) | instskip(SKIP_1) | instid1(VALU_DEP_1)
	v_lshlrev_b64_e32 v[7:8], 3, v[5:6]
	v_add_nc_u32_e32 v5, s18, v5
	v_mad_co_u64_u32 v[9:10], null, s17, v2, v[4:5]
	v_lshlrev_b64_e32 v[10:11], 3, v[5:6]
	s_delay_alu instid0(VALU_DEP_2) | instskip(NEXT) | instid1(VALU_DEP_1)
	v_dual_mov_b32 v4, v9 :: v_dual_add_nc_u32 v5, s18, v5
	v_lshlrev_b64_e32 v[12:13], 3, v[5:6]
	v_add_nc_u32_e32 v5, s18, v5
	s_delay_alu instid0(VALU_DEP_3) | instskip(NEXT) | instid1(VALU_DEP_2)
	v_lshlrev_b64_e32 v[3:4], 3, v[3:4]
	v_lshlrev_b64_e32 v[14:15], 3, v[5:6]
	v_add_nc_u32_e32 v5, s18, v5
	s_delay_alu instid0(VALU_DEP_3) | instskip(NEXT) | instid1(VALU_DEP_4)
	v_add_co_u32 v25, vcc_lo, s26, v3
	v_add_co_ci_u32_e32 v26, vcc_lo, s27, v4, vcc_lo
	s_delay_alu instid0(VALU_DEP_3) | instskip(NEXT) | instid1(VALU_DEP_3)
	v_lshlrev_b64_e32 v[3:4], 3, v[5:6]
	v_add_co_u32 v7, vcc_lo, v25, v7
	s_wait_alu 0xfffd
	s_delay_alu instid0(VALU_DEP_3)
	v_add_co_ci_u32_e32 v8, vcc_lo, v26, v8, vcc_lo
	v_add_co_u32 v9, vcc_lo, v25, v10
	s_wait_alu 0xfffd
	v_add_co_ci_u32_e32 v10, vcc_lo, v26, v11, vcc_lo
	v_add_co_u32 v11, vcc_lo, v25, v12
	v_add_nc_u32_e32 v5, s18, v5
	s_wait_alu 0xfffd
	v_add_co_ci_u32_e32 v12, vcc_lo, v26, v13, vcc_lo
	v_add_co_u32 v13, vcc_lo, v25, v14
	s_wait_alu 0xfffd
	v_add_co_ci_u32_e32 v14, vcc_lo, v26, v15, vcc_lo
	v_lshlrev_b64_e32 v[15:16], 3, v[5:6]
	v_add_nc_u32_e32 v5, s18, v5
	v_add_co_u32 v3, vcc_lo, v25, v3
	s_wait_alu 0xfffd
	v_add_co_ci_u32_e32 v4, vcc_lo, v26, v4, vcc_lo
	s_delay_alu instid0(VALU_DEP_3) | instskip(SKIP_4) | instid1(VALU_DEP_3)
	v_lshlrev_b64_e32 v[17:18], 3, v[5:6]
	v_add_nc_u32_e32 v5, s18, v5
	v_add_co_u32 v15, vcc_lo, v25, v15
	s_wait_alu 0xfffd
	v_add_co_ci_u32_e32 v16, vcc_lo, v26, v16, vcc_lo
	v_lshlrev_b64_e32 v[19:20], 3, v[5:6]
	v_add_nc_u32_e32 v5, s18, v5
	v_add_co_u32 v17, vcc_lo, v25, v17
	s_wait_alu 0xfffd
	v_add_co_ci_u32_e32 v18, vcc_lo, v26, v18, vcc_lo
	s_delay_alu instid0(VALU_DEP_3) | instskip(SKIP_4) | instid1(VALU_DEP_3)
	v_lshlrev_b64_e32 v[21:22], 3, v[5:6]
	v_add_nc_u32_e32 v5, s18, v5
	v_add_co_u32 v19, vcc_lo, v25, v19
	s_wait_alu 0xfffd
	v_add_co_ci_u32_e32 v20, vcc_lo, v26, v20, vcc_lo
	v_lshlrev_b64_e32 v[23:24], 3, v[5:6]
	v_add_nc_u32_e32 v5, s18, v5
	v_add_co_u32 v21, vcc_lo, v25, v21
	s_wait_alu 0xfffd
	v_add_co_ci_u32_e32 v22, vcc_lo, v26, v22, vcc_lo
	s_delay_alu instid0(VALU_DEP_3)
	v_lshlrev_b64_e32 v[5:6], 3, v[5:6]
	v_add_co_u32 v23, vcc_lo, v25, v23
	s_wait_alu 0xfffd
	v_add_co_ci_u32_e32 v24, vcc_lo, v26, v24, vcc_lo
	s_clause 0x3
	global_load_b64 v[7:8], v[7:8], off
	global_load_b64 v[9:10], v[9:10], off
	;; [unrolled: 1-line block ×4, first 2 shown]
	v_add_co_u32 v5, vcc_lo, v25, v5
	s_wait_alu 0xfffd
	v_add_co_ci_u32_e32 v6, vcc_lo, v26, v6, vcc_lo
	s_clause 0x6
	global_load_b64 v[3:4], v[3:4], off
	global_load_b64 v[15:16], v[15:16], off
	;; [unrolled: 1-line block ×7, first 2 shown]
	v_mul_u32_u24_e32 v25, 0x3d0, v1
	v_lshlrev_b32_e32 v26, 3, v2
	s_delay_alu instid0(VALU_DEP_1) | instskip(NEXT) | instid1(VALU_DEP_1)
	v_add3_u32 v25, 0, v25, v26
	v_add_nc_u32_e32 v26, 0x400, v25
	v_add_nc_u32_e32 v27, 0xc00, v25
	;; [unrolled: 1-line block ×4, first 2 shown]
	s_wait_loadcnt 0x9
	ds_store_2addr_b64 v25, v[7:8], v[9:10] offset1:122
	s_wait_loadcnt 0x7
	ds_store_2addr_b64 v26, v[11:12], v[13:14] offset0:116 offset1:238
	s_wait_loadcnt 0x5
	ds_store_2addr_b64 v27, v[3:4], v[15:16] offset0:104 offset1:226
	;; [unrolled: 2-line block ×4, first 2 shown]
	s_wait_loadcnt 0x0
	ds_store_b64 v25, v[5:6] offset:9760
.LBB0_2:
	s_load_b64 s[20:21], s[20:21], 0x0
	s_and_not1_b32 vcc_lo, exec_lo, s7
	s_wait_alu 0xfffe
	s_cbranch_vccnz .LBB0_7
; %bb.3:
	v_add_nc_u32_e32 v3, s6, v1
	s_mov_b32 s7, exec_lo
	s_delay_alu instid0(VALU_DEP_1)
	v_cmpx_gt_u32_e64 s12, v3
	s_cbranch_execz .LBB0_6
; %bb.4:
	v_mad_co_u64_u32 v[4:5], null, s16, v2, 0
	v_mul_u32_u24_e32 v7, 0x3d0, v1
	v_mul_lo_u32 v1, v1, s18
	s_mov_b32 s11, 0
	s_delay_alu instid0(VALU_DEP_3) | instskip(SKIP_4) | instid1(VALU_DEP_2)
	v_mad_co_u64_u32 v[5:6], null, s17, v2, v[5:6]
	s_lshl_b64 s[16:17], s[24:25], 3
	v_lshlrev_b32_e32 v2, 3, v2
	s_wait_alu 0xfffe
	s_add_nc_u64 s[16:17], s[22:23], s[16:17]
	v_lshlrev_b64_e32 v[5:6], 3, v[4:5]
	s_delay_alu instid0(VALU_DEP_2) | instskip(SKIP_2) | instid1(VALU_DEP_3)
	v_add3_u32 v4, v7, v2, 0
	v_mov_b32_e32 v2, 0
	s_wait_alu 0xfffe
	v_add_co_u32 v5, vcc_lo, s16, v5
	s_wait_alu 0xfffd
	v_add_co_ci_u32_e32 v6, vcc_lo, s17, v6, vcc_lo
.LBB0_5:                                ; =>This Inner Loop Header: Depth=1
	v_lshlrev_b64_e32 v[7:8], 3, v[1:2]
	v_add_nc_u32_e32 v3, 1, v3
	v_add_nc_u32_e32 v1, s18, v1
	s_delay_alu instid0(VALU_DEP_3) | instskip(SKIP_1) | instid1(VALU_DEP_4)
	v_add_co_u32 v7, vcc_lo, v5, v7
	s_wait_alu 0xfffd
	v_add_co_ci_u32_e32 v8, vcc_lo, v6, v8, vcc_lo
	v_cmp_le_u32_e32 vcc_lo, s12, v3
	global_load_b64 v[7:8], v[7:8], off
	s_or_b32 s11, vcc_lo, s11
	s_wait_loadcnt 0x0
	ds_store_b64 v4, v[7:8]
	v_add_nc_u32_e32 v4, 0x3d0, v4
	s_and_not1_b32 exec_lo, exec_lo, s11
	s_cbranch_execnz .LBB0_5
.LBB0_6:
	s_wait_alu 0xfffe
	s_or_b32 exec_lo, exec_lo, s7
.LBB0_7:
	v_and_b32_e32 v1, 0xffff, v0
	v_mul_hi_u32 v3, 0x1745d175, v0
	global_wb scope:SCOPE_SE
	s_wait_dscnt 0x0
	s_wait_kmcnt 0x0
	s_barrier_signal -1
	s_barrier_wait -1
	v_mul_u32_u24_e32 v1, 0x1746, v1
	global_inv scope:SCOPE_SE
	s_load_b64 s[0:1], s[0:1], 0x60
	s_and_not1_b32 vcc_lo, exec_lo, s3
	v_mul_u32_u24_e32 v3, 11, v3
	v_lshrrev_b32_e32 v7, 16, v1
	s_delay_alu instid0(VALU_DEP_2) | instskip(NEXT) | instid1(VALU_DEP_2)
	v_sub_nc_u32_e32 v8, v0, v3
	v_add_nc_u32_e32 v1, s6, v7
	s_delay_alu instid0(VALU_DEP_2) | instskip(NEXT) | instid1(VALU_DEP_2)
	v_lshlrev_b32_e32 v3, 3, v8
	v_mul_hi_u32 v2, 0xba2e8ba3, v1
	s_delay_alu instid0(VALU_DEP_1) | instskip(NEXT) | instid1(VALU_DEP_1)
	v_lshrrev_b32_e32 v2, 3, v2
	v_mul_lo_u32 v2, v2, 11
	s_delay_alu instid0(VALU_DEP_1) | instskip(NEXT) | instid1(VALU_DEP_1)
	v_sub_nc_u32_e32 v1, v1, v2
	v_mul_u32_u24_e32 v1, 0x7a, v1
	s_delay_alu instid0(VALU_DEP_1) | instskip(NEXT) | instid1(VALU_DEP_1)
	v_lshlrev_b32_e32 v1, 3, v1
	v_add3_u32 v2, 0, v1, v3
	v_add3_u32 v1, 0, v3, v1
	ds_load_b64 v[25:26], v2
	ds_load_2addr_b64 v[3:6], v1 offset0:11 offset1:22
	ds_load_2addr_b64 v[9:12], v1 offset0:99 offset1:110
	;; [unrolled: 1-line block ×5, first 2 shown]
	global_wb scope:SCOPE_SE
	s_wait_dscnt 0x0
	s_wait_kmcnt 0x0
	s_barrier_signal -1
	s_barrier_wait -1
	global_inv scope:SCOPE_SE
	v_dual_add_f32 v27, v25, v3 :: v_dual_add_f32 v28, v26, v4
	v_dual_add_f32 v29, v11, v3 :: v_dual_add_f32 v30, v12, v4
	v_dual_sub_f32 v4, v4, v12 :: v_dual_sub_f32 v3, v3, v11
	v_dual_add_f32 v31, v9, v5 :: v_dual_add_f32 v32, v10, v6
	v_dual_sub_f32 v33, v5, v9 :: v_dual_sub_f32 v34, v6, v10
	v_dual_add_f32 v5, v27, v5 :: v_dual_add_f32 v6, v28, v6
	s_delay_alu instid0(VALU_DEP_4)
	v_mul_f32_e32 v27, 0xbf0a6770, v4
	v_mul_f32_e32 v35, 0xbf68dda4, v4
	;; [unrolled: 1-line block ×10, first 2 shown]
	v_dual_add_f32 v5, v5, v13 :: v_dual_add_f32 v6, v6, v14
	s_delay_alu instid0(VALU_DEP_4)
	v_fmamk_f32 v48, v30, 0x3f575c64, v28
	v_mul_f32_e32 v3, 0xbe903f40, v3
	v_fmamk_f32 v50, v30, 0x3ed4b147, v36
	v_fma_f32 v49, 0x3ed4b147, v29, -v35
	v_fmac_f32_e32 v35, 0x3ed4b147, v29
	v_dual_add_f32 v5, v5, v15 :: v_dual_add_f32 v6, v6, v16
	v_fmamk_f32 v56, v30, 0xbf75a155, v3
	v_add_f32_e32 v50, v26, v50
	v_fma_f32 v51, 0xbe11bafb, v29, -v37
	v_dual_mul_f32 v43, 0xbf4178ce, v34 :: v_dual_mul_f32 v44, 0xbf4178ce, v33
	v_dual_add_f32 v6, v6, v18 :: v_dual_add_f32 v5, v5, v17
	s_delay_alu instid0(VALU_DEP_3)
	v_add_f32_e32 v51, v25, v51
	v_fma_f32 v47, 0x3f575c64, v29, -v27
	v_fma_f32 v28, 0x3f575c64, v30, -v28
	v_fmac_f32_e32 v27, 0x3f575c64, v29
	v_fma_f32 v36, 0x3ed4b147, v30, -v36
	v_dual_fmamk_f32 v52, v30, 0xbe11bafb, v38 :: v_dual_fmac_f32 v37, 0xbe11bafb, v29
	v_fma_f32 v53, 0xbf27a4f4, v29, -v39
	v_dual_fmamk_f32 v54, v30, 0xbf27a4f4, v40 :: v_dual_fmac_f32 v39, 0xbf27a4f4, v29
	v_fma_f32 v55, 0xbf75a155, v29, -v4
	v_dual_fmac_f32 v4, 0xbf75a155, v29 :: v_dual_add_f32 v47, v25, v47
	v_dual_add_f32 v6, v6, v20 :: v_dual_add_f32 v5, v5, v19
	v_fma_f32 v38, 0xbe11bafb, v30, -v38
	v_fma_f32 v40, 0xbf27a4f4, v30, -v40
	;; [unrolled: 1-line block ×3, first 2 shown]
	v_fmamk_f32 v58, v32, 0xbf27a4f4, v44
	v_fma_f32 v44, 0xbf27a4f4, v32, -v44
	v_dual_add_f32 v28, v26, v28 :: v_dual_add_f32 v27, v25, v27
	v_dual_add_f32 v36, v26, v36 :: v_dual_add_f32 v49, v25, v49
	;; [unrolled: 1-line block ×7, first 2 shown]
	v_add_f32_e32 v25, v25, v4
	v_dual_add_f32 v4, v5, v21 :: v_dual_add_f32 v5, v6, v22
	v_dual_mul_f32 v41, 0xbf68dda4, v34 :: v_dual_add_f32 v48, v26, v48
	v_add_f32_e32 v6, v26, v3
	s_delay_alu instid0(VALU_DEP_3) | instskip(SKIP_1) | instid1(VALU_DEP_4)
	v_dual_add_f32 v3, v4, v23 :: v_dual_add_f32 v4, v5, v24
	v_dual_mul_f32 v45, 0x3e903f40, v34 :: v_dual_mul_f32 v46, 0x3e903f40, v33
	v_fma_f32 v29, 0x3ed4b147, v31, -v41
	v_dual_fmamk_f32 v30, v32, 0x3ed4b147, v42 :: v_dual_fmac_f32 v41, 0x3ed4b147, v31
	s_delay_alu instid0(VALU_DEP_4) | instskip(SKIP_2) | instid1(VALU_DEP_4)
	v_dual_add_f32 v3, v3, v9 :: v_dual_add_f32 v4, v4, v10
	v_fma_f32 v57, 0xbf27a4f4, v31, -v43
	v_fmac_f32_e32 v43, 0xbf27a4f4, v31
	v_dual_add_f32 v26, v29, v47 :: v_dual_add_f32 v29, v30, v48
	s_delay_alu instid0(VALU_DEP_4)
	v_dual_add_f32 v5, v41, v27 :: v_dual_add_f32 v4, v4, v12
	v_add_f32_e32 v30, v44, v36
	v_dual_fmamk_f32 v12, v32, 0xbf75a155, v46 :: v_dual_add_f32 v3, v3, v11
	v_mul_f32_e32 v36, 0x3f7d64f0, v33
	v_fma_f32 v42, 0x3ed4b147, v32, -v42
	v_fma_f32 v59, 0xbf75a155, v31, -v45
	v_dual_add_f32 v9, v58, v50 :: v_dual_add_f32 v10, v43, v35
	v_fma_f32 v41, 0xbf75a155, v32, -v46
	v_fmac_f32_e32 v45, 0xbf75a155, v31
	v_dual_fmamk_f32 v43, v32, 0xbe11bafb, v36 :: v_dual_add_f32 v44, v23, v13
	v_fma_f32 v36, 0xbe11bafb, v32, -v36
	v_mul_f32_e32 v35, 0x3f7d64f0, v34
	v_dual_add_f32 v27, v42, v28 :: v_dual_add_f32 v28, v57, v49
	v_add_f32_e32 v38, v41, v38
	v_dual_add_f32 v37, v45, v37 :: v_dual_mul_f32 v34, 0x3f0a6770, v34
	v_add_f32_e32 v36, v36, v40
	v_fma_f32 v42, 0xbe11bafb, v31, -v35
	v_fmac_f32_e32 v35, 0xbe11bafb, v31
	v_sub_f32_e32 v13, v13, v23
	v_dual_add_f32 v11, v59, v51 :: v_dual_add_f32 v12, v12, v52
	s_delay_alu instid0(VALU_DEP_4)
	v_dual_add_f32 v41, v42, v53 :: v_dual_add_f32 v42, v43, v54
	v_fma_f32 v43, 0x3f575c64, v31, -v34
	v_mul_f32_e32 v33, 0x3f0a6770, v33
	v_fmac_f32_e32 v34, 0x3f575c64, v31
	v_mul_f32_e32 v31, 0xbf7d64f0, v13
	v_add_f32_e32 v35, v35, v39
	s_delay_alu instid0(VALU_DEP_4) | instskip(SKIP_2) | instid1(VALU_DEP_3)
	v_dual_add_f32 v40, v43, v55 :: v_dual_fmamk_f32 v43, v32, 0x3f575c64, v33
	v_fma_f32 v23, 0x3f575c64, v32, -v33
	v_dual_sub_f32 v39, v14, v24 :: v_dual_add_f32 v14, v24, v14
	v_add_f32_e32 v32, v43, v56
	s_delay_alu instid0(VALU_DEP_2) | instskip(SKIP_1) | instid1(VALU_DEP_2)
	v_dual_add_f32 v6, v23, v6 :: v_dual_mul_f32 v45, 0xbf7d64f0, v39
	v_dual_add_f32 v25, v34, v25 :: v_dual_mul_f32 v34, 0x3f68dda4, v39
	v_fma_f32 v24, 0xbe11bafb, v44, -v45
	s_delay_alu instid0(VALU_DEP_1) | instskip(SKIP_1) | instid1(VALU_DEP_2)
	v_dual_add_f32 v23, v24, v26 :: v_dual_fmamk_f32 v24, v14, 0xbe11bafb, v31
	v_mul_f32_e32 v26, 0x3e903f40, v39
	v_add_f32_e32 v24, v24, v29
	s_delay_alu instid0(VALU_DEP_2) | instskip(SKIP_3) | instid1(VALU_DEP_4)
	v_fma_f32 v29, 0xbf75a155, v44, -v26
	v_mul_f32_e32 v33, 0x3e903f40, v13
	v_fmac_f32_e32 v26, 0xbf75a155, v44
	v_fmac_f32_e32 v45, 0xbe11bafb, v44
	v_dual_mul_f32 v43, 0xbf0a6770, v13 :: v_dual_add_f32 v28, v29, v28
	v_fma_f32 v31, 0xbe11bafb, v14, -v31
	v_fma_f32 v29, 0xbf75a155, v14, -v33
	s_delay_alu instid0(VALU_DEP_2) | instskip(NEXT) | instid1(VALU_DEP_2)
	v_dual_add_f32 v10, v26, v10 :: v_dual_add_f32 v27, v31, v27
	v_dual_add_f32 v26, v29, v30 :: v_dual_fmamk_f32 v31, v14, 0xbf75a155, v33
	v_mul_f32_e32 v33, 0x3f68dda4, v13
	v_add_f32_e32 v5, v45, v5
	v_mul_f32_e32 v13, 0xbf4178ce, v13
	s_delay_alu instid0(VALU_DEP_4) | instskip(SKIP_3) | instid1(VALU_DEP_3)
	v_add_f32_e32 v9, v31, v9
	v_fma_f32 v31, 0x3ed4b147, v44, -v34
	v_fmac_f32_e32 v34, 0x3ed4b147, v44
	v_mul_f32_e32 v29, 0xbf0a6770, v39
	v_dual_fmamk_f32 v30, v14, 0x3ed4b147, v33 :: v_dual_add_f32 v11, v31, v11
	s_delay_alu instid0(VALU_DEP_1) | instskip(SKIP_4) | instid1(VALU_DEP_2)
	v_add_f32_e32 v12, v30, v12
	v_fma_f32 v31, 0x3ed4b147, v14, -v33
	v_add_f32_e32 v30, v34, v37
	v_fmamk_f32 v34, v14, 0x3f575c64, v43
	v_fma_f32 v33, 0x3f575c64, v44, -v29
	v_dual_mul_f32 v37, 0xbf4178ce, v39 :: v_dual_add_f32 v34, v34, v42
	s_delay_alu instid0(VALU_DEP_1) | instskip(NEXT) | instid1(VALU_DEP_3)
	v_fma_f32 v39, 0xbf27a4f4, v44, -v37
	v_add_f32_e32 v33, v33, v41
	v_fmamk_f32 v41, v14, 0xbf27a4f4, v13
	v_add_f32_e32 v31, v31, v38
	v_fma_f32 v38, 0x3f575c64, v14, -v43
	v_fma_f32 v13, 0xbf27a4f4, v14, -v13
	v_fmac_f32_e32 v29, 0x3f575c64, v44
	v_add_f32_e32 v14, v22, v16
	s_delay_alu instid0(VALU_DEP_3) | instskip(NEXT) | instid1(VALU_DEP_3)
	v_add_f32_e32 v6, v13, v6
	v_add_f32_e32 v29, v29, v35
	v_dual_add_f32 v35, v38, v36 :: v_dual_sub_f32 v36, v16, v22
	v_dual_add_f32 v38, v39, v40 :: v_dual_add_f32 v39, v21, v15
	v_sub_f32_e32 v15, v15, v21
	s_delay_alu instid0(VALU_DEP_3) | instskip(SKIP_1) | instid1(VALU_DEP_2)
	v_mul_f32_e32 v21, 0xbf4178ce, v36
	v_mul_f32_e32 v13, 0x3f7d64f0, v36
	v_fma_f32 v22, 0xbf27a4f4, v39, -v21
	s_delay_alu instid0(VALU_DEP_1) | instskip(NEXT) | instid1(VALU_DEP_3)
	v_add_f32_e32 v22, v22, v23
	v_fma_f32 v23, 0xbe11bafb, v39, -v13
	v_fmac_f32_e32 v13, 0xbe11bafb, v39
	s_delay_alu instid0(VALU_DEP_2) | instskip(NEXT) | instid1(VALU_DEP_2)
	v_dual_mul_f32 v16, 0xbf4178ce, v15 :: v_dual_add_f32 v23, v23, v28
	v_dual_add_f32 v13, v13, v10 :: v_dual_mul_f32 v10, 0xbe903f40, v36
	v_fmac_f32_e32 v21, 0xbf27a4f4, v39
	s_delay_alu instid0(VALU_DEP_1) | instskip(SKIP_1) | instid1(VALU_DEP_1)
	v_add_f32_e32 v21, v21, v5
	v_mul_f32_e32 v5, 0xbf0a6770, v36
	v_fma_f32 v40, 0x3f575c64, v39, -v5
	v_fmac_f32_e32 v5, 0x3f575c64, v39
	s_delay_alu instid0(VALU_DEP_1) | instskip(NEXT) | instid1(VALU_DEP_1)
	v_dual_fmac_f32 v37, 0xbf27a4f4, v44 :: v_dual_add_f32 v30, v5, v30
	v_add_f32_e32 v25, v37, v25
	v_fmamk_f32 v37, v14, 0xbf27a4f4, v16
	v_fma_f32 v16, 0xbf27a4f4, v14, -v16
	s_delay_alu instid0(VALU_DEP_2) | instskip(SKIP_1) | instid1(VALU_DEP_3)
	v_dual_add_f32 v24, v37, v24 :: v_dual_mul_f32 v37, 0x3f7d64f0, v15
	v_add_f32_e32 v32, v41, v32
	v_add_f32_e32 v16, v16, v27
	;; [unrolled: 1-line block ×3, first 2 shown]
	s_delay_alu instid0(VALU_DEP_4) | instskip(NEXT) | instid1(VALU_DEP_1)
	v_fma_f32 v28, 0xbe11bafb, v14, -v37
	v_add_f32_e32 v26, v28, v26
	v_add_f32_e32 v28, v40, v11
	v_dual_add_f32 v40, v19, v17 :: v_dual_fmamk_f32 v27, v14, 0xbe11bafb, v37
	v_mul_f32_e32 v37, 0xbf0a6770, v15
	s_delay_alu instid0(VALU_DEP_2) | instskip(NEXT) | instid1(VALU_DEP_2)
	v_add_f32_e32 v27, v27, v9
	v_fmamk_f32 v9, v14, 0x3f575c64, v37
	v_fma_f32 v11, 0x3f575c64, v14, -v37
	v_mul_f32_e32 v5, 0x3f68dda4, v36
	s_delay_alu instid0(VALU_DEP_3) | instskip(SKIP_3) | instid1(VALU_DEP_3)
	v_add_f32_e32 v37, v9, v12
	v_mul_f32_e32 v9, 0xbe903f40, v15
	v_fma_f32 v12, 0xbf75a155, v39, -v10
	v_add_f32_e32 v31, v11, v31
	v_dual_fmac_f32 v10, 0xbf75a155, v39 :: v_dual_fmamk_f32 v11, v14, 0xbf75a155, v9
	s_delay_alu instid0(VALU_DEP_3) | instskip(SKIP_2) | instid1(VALU_DEP_4)
	v_add_f32_e32 v33, v12, v33
	v_fma_f32 v9, 0xbf75a155, v14, -v9
	v_fma_f32 v12, 0x3ed4b147, v39, -v5
	v_dual_add_f32 v34, v11, v34 :: v_dual_mul_f32 v11, 0x3f68dda4, v15
	s_delay_alu instid0(VALU_DEP_2) | instskip(NEXT) | instid1(VALU_DEP_4)
	v_add_f32_e32 v36, v12, v38
	v_dual_sub_f32 v38, v18, v20 :: v_dual_add_f32 v35, v9, v35
	s_delay_alu instid0(VALU_DEP_3) | instskip(SKIP_1) | instid1(VALU_DEP_3)
	v_fmamk_f32 v9, v14, 0x3ed4b147, v11
	v_fma_f32 v11, 0x3ed4b147, v14, -v11
	v_mul_f32_e32 v14, 0x3f0a6770, v38
	s_delay_alu instid0(VALU_DEP_3) | instskip(NEXT) | instid1(VALU_DEP_3)
	v_add_f32_e32 v32, v9, v32
	v_dual_add_f32 v42, v11, v6 :: v_dual_fmac_f32 v5, 0x3ed4b147, v39
	v_sub_f32_e32 v39, v17, v19
	v_mul_f32_e32 v17, 0xbf4178ce, v38
	s_delay_alu instid0(VALU_DEP_2) | instskip(SKIP_3) | instid1(VALU_DEP_4)
	v_dual_add_f32 v25, v5, v25 :: v_dual_mul_f32 v12, 0xbe903f40, v39
	v_dual_mul_f32 v18, 0xbf4178ce, v39 :: v_dual_add_f32 v29, v10, v29
	v_mul_f32_e32 v10, 0xbe903f40, v38
	v_mul_f32_e32 v15, 0x3f0a6770, v39
	v_fmamk_f32 v6, v41, 0xbf75a155, v12
	v_fma_f32 v11, 0xbf75a155, v41, -v12
	v_fma_f32 v12, 0x3f575c64, v40, -v14
	;; [unrolled: 1-line block ×3, first 2 shown]
	v_fmac_f32_e32 v10, 0xbf75a155, v40
	v_fmac_f32_e32 v14, 0x3f575c64, v40
	s_delay_alu instid0(VALU_DEP_3) | instskip(NEXT) | instid1(VALU_DEP_3)
	v_dual_add_f32 v6, v6, v24 :: v_dual_add_f32 v5, v9, v22
	v_dual_add_f32 v9, v10, v21 :: v_dual_add_f32 v10, v11, v16
	v_dual_add_f32 v11, v12, v23 :: v_dual_fmamk_f32 v12, v41, 0x3f575c64, v15
	v_fma_f32 v15, 0x3f575c64, v41, -v15
	v_add_f32_e32 v13, v14, v13
	v_fma_f32 v16, 0xbf27a4f4, v40, -v17
	s_delay_alu instid0(VALU_DEP_4) | instskip(NEXT) | instid1(VALU_DEP_4)
	v_dual_mul_f32 v21, 0x3f68dda4, v38 :: v_dual_add_f32 v12, v12, v27
	v_add_f32_e32 v14, v15, v26
	s_delay_alu instid0(VALU_DEP_3) | instskip(NEXT) | instid1(VALU_DEP_3)
	v_dual_mul_f32 v26, 0xbf7d64f0, v38 :: v_dual_add_f32 v15, v16, v28
	v_fma_f32 v19, 0x3ed4b147, v40, -v21
	v_fmac_f32_e32 v21, 0x3ed4b147, v40
	v_fmac_f32_e32 v17, 0xbf27a4f4, v40
	s_delay_alu instid0(VALU_DEP_4)
	v_fma_f32 v24, 0xbe11bafb, v40, -v26
	v_fmac_f32_e32 v26, 0xbe11bafb, v40
	v_mul_f32_e32 v23, 0xbf7d64f0, v39
	v_mul_f32_e32 v22, 0x3f68dda4, v39
	v_fmamk_f32 v16, v41, 0xbf27a4f4, v18
	v_fma_f32 v18, 0xbf27a4f4, v41, -v18
	v_add_f32_e32 v19, v19, v33
	v_fmamk_f32 v27, v41, 0xbe11bafb, v23
	v_fmamk_f32 v20, v41, 0x3ed4b147, v22
	v_fma_f32 v22, 0x3ed4b147, v41, -v22
	v_fma_f32 v28, 0xbe11bafb, v41, -v23
	v_add_f32_e32 v23, v24, v36
	v_add_f32_e32 v24, v27, v32
	v_mad_u32_u24 v27, 0x50, v8, v1
	v_add_f32_e32 v16, v16, v37
	v_add_f32_e32 v20, v20, v34
	;; [unrolled: 1-line block ×3, first 2 shown]
	ds_store_2addr_b64 v27, v[3:4], v[5:6] offset1:1
	ds_store_2addr_b64 v27, v[11:12], v[15:16] offset0:2 offset1:3
	v_mul_u32_u24_e32 v3, 10, v8
	v_dual_add_f32 v18, v18, v31 :: v_dual_add_f32 v21, v21, v29
	v_dual_add_f32 v25, v26, v25 :: v_dual_add_f32 v26, v28, v42
	v_add_f32_e32 v17, v17, v30
	ds_store_2addr_b64 v27, v[19:20], v[23:24] offset0:4 offset1:5
	ds_store_2addr_b64 v27, v[25:26], v[21:22] offset0:6 offset1:7
	;; [unrolled: 1-line block ×3, first 2 shown]
	ds_store_b64 v27, v[9:10] offset:80
	v_lshlrev_b32_e32 v21, 3, v3
	global_wb scope:SCOPE_SE
	s_wait_dscnt 0x0
	s_barrier_signal -1
	s_barrier_wait -1
	global_inv scope:SCOPE_SE
	s_clause 0x4
	global_load_b128 v[3:6], v21, s[4:5]
	global_load_b128 v[9:12], v21, s[4:5] offset:16
	global_load_b128 v[13:16], v21, s[4:5] offset:32
	;; [unrolled: 1-line block ×4, first 2 shown]
	ds_load_2addr_b64 v[25:28], v1 offset0:11 offset1:22
	ds_load_2addr_b64 v[29:32], v1 offset0:33 offset1:44
	ds_load_2addr_b32 v[41:42], v1 offset0:110 offset1:111
	ds_load_2addr_b64 v[33:36], v1 offset0:66 offset1:77
	ds_load_2addr_b64 v[37:40], v1 offset0:88 offset1:99
	ds_load_b64 v[43:44], v1 offset:880
	ds_load_b64 v[45:46], v2
	s_mov_b32 s5, 0
	s_mul_i32 s4, s13, s10
	s_mov_b32 s7, s5
	s_mul_u64 s[10:11], s[20:21], s[14:15]
	s_wait_alu 0xfffe
	s_mul_u64 s[14:15], s[8:9], s[6:7]
	global_wb scope:SCOPE_SE
	s_wait_loadcnt_dscnt 0x0
	s_add_nc_u64 s[14:15], s[14:15], s[4:5]
	s_barrier_signal -1
	s_add_nc_u64 s[10:11], s[14:15], s[10:11]
	s_barrier_wait -1
	global_inv scope:SCOPE_SE
	v_mul_f32_e32 v2, v4, v26
	v_mul_f32_e32 v4, v4, v25
	;; [unrolled: 1-line block ×8, first 2 shown]
	v_dual_fmac_f32 v10, v9, v30 :: v_dual_mul_f32 v49, v12, v32
	v_mul_f32_e32 v12, v12, v31
	v_mul_f32_e32 v52, v36, v18
	s_delay_alu instid0(VALU_DEP_4) | instskip(SKIP_4) | instid1(VALU_DEP_4)
	v_fmac_f32_e32 v14, v42, v13
	v_dual_mul_f32 v18, v35, v18 :: v_dual_mul_f32 v51, v34, v16
	v_mul_f32_e32 v16, v33, v16
	v_mul_f32_e32 v54, v40, v22
	;; [unrolled: 1-line block ×3, first 2 shown]
	v_fmac_f32_e32 v18, v36, v17
	s_delay_alu instid0(VALU_DEP_4)
	v_dual_mul_f32 v55, v44, v24 :: v_dual_fmac_f32 v16, v34, v15
	v_mul_f32_e32 v24, v43, v24
	v_mul_f32_e32 v53, v38, v20
	v_mul_f32_e32 v20, v37, v20
	v_fma_f32 v2, v3, v25, -v2
	v_fmac_f32_e32 v4, v3, v26
	v_fmac_f32_e32 v24, v44, v23
	v_fma_f32 v3, v5, v27, -v47
	v_fmac_f32_e32 v6, v5, v28
	v_fma_f32 v5, v9, v29, -v48
	v_fma_f32 v9, v11, v31, -v49
	v_fmac_f32_e32 v12, v11, v32
	v_fma_f32 v11, v13, v41, -v50
	v_fma_f32 v13, v33, v15, -v51
	v_fma_f32 v15, v35, v17, -v52
	v_fma_f32 v17, v37, v19, -v53
	v_fmac_f32_e32 v20, v38, v19
	v_fma_f32 v19, v39, v21, -v54
	v_fma_f32 v25, v43, v23, -v55
	v_add_f32_e32 v23, v4, v46
	v_fmac_f32_e32 v22, v40, v21
	v_add_f32_e32 v21, v2, v45
	s_delay_alu instid0(VALU_DEP_4) | instskip(SKIP_2) | instid1(VALU_DEP_4)
	v_dual_add_f32 v27, v4, v24 :: v_dual_add_f32 v26, v2, v25
	v_add_f32_e32 v28, v3, v19
	v_sub_f32_e32 v30, v3, v19
	v_dual_add_f32 v3, v21, v3 :: v_dual_sub_f32 v4, v4, v24
	v_add_f32_e32 v29, v6, v22
	v_sub_f32_e32 v2, v2, v25
	v_sub_f32_e32 v31, v6, v22
	s_delay_alu instid0(VALU_DEP_4) | instskip(NEXT) | instid1(VALU_DEP_3)
	v_dual_add_f32 v6, v23, v6 :: v_dual_mul_f32 v21, 0xbf0a6770, v4
	v_dual_mul_f32 v32, 0xbf68dda4, v4 :: v_dual_mul_f32 v33, 0xbf68dda4, v2
	v_mul_f32_e32 v23, 0xbf0a6770, v2
	v_dual_mul_f32 v34, 0xbf7d64f0, v4 :: v_dual_mul_f32 v35, 0xbf7d64f0, v2
	v_dual_mul_f32 v36, 0xbf4178ce, v4 :: v_dual_mul_f32 v37, 0xbf4178ce, v2
	v_dual_mul_f32 v4, 0xbe903f40, v4 :: v_dual_add_f32 v3, v3, v5
	v_dual_mul_f32 v38, 0xbf68dda4, v31 :: v_dual_mul_f32 v39, 0xbf68dda4, v30
	v_dual_mul_f32 v40, 0xbf4178ce, v31 :: v_dual_mul_f32 v41, 0xbf4178ce, v30
	;; [unrolled: 1-line block ×4, first 2 shown]
	v_dual_mul_f32 v31, 0x3f0a6770, v31 :: v_dual_add_f32 v6, v6, v10
	v_fmamk_f32 v49, v27, 0x3f575c64, v23
	v_dual_mul_f32 v2, 0xbe903f40, v2 :: v_dual_add_f32 v3, v3, v9
	v_fma_f32 v48, 0x3f575c64, v26, -v21
	s_delay_alu instid0(VALU_DEP_4)
	v_dual_fmac_f32 v21, 0x3f575c64, v26 :: v_dual_add_f32 v6, v6, v12
	v_fma_f32 v23, 0x3f575c64, v27, -v23
	v_fma_f32 v50, 0x3ed4b147, v26, -v32
	v_dual_fmamk_f32 v51, v27, 0x3ed4b147, v33 :: v_dual_fmac_f32 v32, 0x3ed4b147, v26
	v_fma_f32 v33, 0x3ed4b147, v27, -v33
	v_fma_f32 v52, 0xbe11bafb, v26, -v34
	v_dual_fmamk_f32 v53, v27, 0xbe11bafb, v35 :: v_dual_fmac_f32 v34, 0xbe11bafb, v26
	;; [unrolled: 3-line block ×3, first 2 shown]
	v_fma_f32 v37, 0xbf27a4f4, v27, -v37
	v_fma_f32 v56, 0xbf75a155, v26, -v4
	v_dual_fmamk_f32 v57, v27, 0xbf75a155, v2 :: v_dual_add_f32 v48, v48, v45
	v_dual_fmac_f32 v4, 0xbf75a155, v26 :: v_dual_fmamk_f32 v61, v29, 0xbf75a155, v43
	v_fma_f32 v2, 0xbf75a155, v27, -v2
	v_fma_f32 v58, 0xbf27a4f4, v28, -v40
	v_dual_fmamk_f32 v59, v29, 0xbf27a4f4, v41 :: v_dual_fmac_f32 v40, 0xbf27a4f4, v28
	v_dual_add_f32 v21, v21, v45 :: v_dual_add_f32 v6, v6, v14
	v_dual_add_f32 v23, v23, v46 :: v_dual_add_f32 v32, v32, v45
	v_add_f32_e32 v3, v3, v11
	v_fma_f32 v26, 0x3ed4b147, v28, -v38
	v_dual_fmamk_f32 v27, v29, 0x3ed4b147, v39 :: v_dual_fmac_f32 v38, 0x3ed4b147, v28
	v_fma_f32 v60, 0xbf75a155, v28, -v42
	v_dual_fmac_f32 v42, 0xbf75a155, v28 :: v_dual_add_f32 v49, v49, v46
	v_dual_fmamk_f32 v63, v29, 0xbe11bafb, v47 :: v_dual_add_f32 v50, v50, v45
	v_dual_add_f32 v51, v51, v46 :: v_dual_add_f32 v52, v52, v45
	v_dual_add_f32 v33, v33, v46 :: v_dual_add_f32 v34, v34, v45
	;; [unrolled: 1-line block ×8, first 2 shown]
	v_add_f32_e32 v6, v27, v49
	v_fma_f32 v39, 0x3ed4b147, v29, -v39
	v_fma_f32 v41, 0xbf27a4f4, v29, -v41
	s_delay_alu instid0(VALU_DEP_4) | instskip(SKIP_1) | instid1(VALU_DEP_4)
	v_dual_add_f32 v2, v2, v15 :: v_dual_add_f32 v3, v3, v18
	v_fma_f32 v43, 0xbf75a155, v29, -v43
	v_add_f32_e32 v23, v39, v23
	s_delay_alu instid0(VALU_DEP_4) | instskip(NEXT) | instid1(VALU_DEP_4)
	v_add_f32_e32 v33, v41, v33
	v_dual_add_f32 v2, v2, v17 :: v_dual_add_f32 v3, v3, v20
	v_sub_f32_e32 v41, v10, v20
	v_fma_f32 v62, 0xbe11bafb, v28, -v44
	v_fmac_f32_e32 v44, 0xbe11bafb, v28
	s_delay_alu instid0(VALU_DEP_4) | instskip(SKIP_3) | instid1(VALU_DEP_4)
	v_dual_add_f32 v2, v2, v19 :: v_dual_add_f32 v3, v3, v22
	v_add_f32_e32 v22, v43, v35
	v_fma_f32 v35, 0x3f575c64, v28, -v31
	v_add_f32_e32 v19, v42, v34
	v_dual_add_f32 v2, v2, v25 :: v_dual_add_f32 v3, v3, v24
	v_mul_f32_e32 v30, 0x3f0a6770, v30
	v_add_f32_e32 v24, v63, v55
	v_fma_f32 v25, 0xbe11bafb, v29, -v47
	v_dual_add_f32 v35, v35, v56 :: v_dual_add_f32 v42, v5, v17
	v_fmac_f32_e32 v31, 0x3f575c64, v28
	v_mul_f32_e32 v43, 0xbf7d64f0, v41
	v_dual_add_f32 v57, v57, v46 :: v_dual_add_f32 v26, v26, v48
	v_dual_add_f32 v36, v44, v36 :: v_dual_add_f32 v25, v25, v37
	v_dual_fmamk_f32 v37, v29, 0x3f575c64, v30 :: v_dual_add_f32 v10, v10, v20
	v_add_f32_e32 v4, v31, v4
	v_fma_f32 v20, 0xbe11bafb, v42, -v43
	v_sub_f32_e32 v5, v5, v17
	v_dual_add_f32 v39, v60, v52 :: v_dual_add_f32 v34, v62, v54
	v_fma_f32 v17, 0x3f575c64, v29, -v30
	s_delay_alu instid0(VALU_DEP_4) | instskip(NEXT) | instid1(VALU_DEP_4)
	v_add_f32_e32 v20, v20, v26
	v_mul_f32_e32 v28, 0xbf7d64f0, v5
	v_add_f32_e32 v29, v37, v57
	v_dual_add_f32 v21, v38, v21 :: v_dual_add_f32 v38, v59, v51
	v_dual_add_f32 v27, v58, v50 :: v_dual_add_f32 v40, v61, v53
	s_delay_alu instid0(VALU_DEP_4) | instskip(SKIP_3) | instid1(VALU_DEP_4)
	v_fmamk_f32 v26, v10, 0xbe11bafb, v28
	v_fma_f32 v28, 0xbe11bafb, v10, -v28
	v_mul_f32_e32 v30, 0x3e903f40, v41
	v_mul_f32_e32 v31, 0x3e903f40, v5
	v_dual_add_f32 v17, v17, v45 :: v_dual_add_f32 v6, v26, v6
	s_delay_alu instid0(VALU_DEP_4) | instskip(NEXT) | instid1(VALU_DEP_4)
	v_add_f32_e32 v23, v28, v23
	v_fma_f32 v26, 0xbf75a155, v42, -v30
	s_delay_alu instid0(VALU_DEP_4) | instskip(SKIP_2) | instid1(VALU_DEP_4)
	v_fmamk_f32 v28, v10, 0xbf75a155, v31
	v_fmac_f32_e32 v43, 0xbe11bafb, v42
	v_fmac_f32_e32 v30, 0xbf75a155, v42
	v_dual_mul_f32 v37, 0x3f68dda4, v41 :: v_dual_add_f32 v26, v26, v27
	s_delay_alu instid0(VALU_DEP_3)
	v_dual_add_f32 v28, v28, v38 :: v_dual_add_f32 v21, v43, v21
	v_fma_f32 v27, 0xbf75a155, v10, -v31
	v_mul_f32_e32 v38, 0x3f68dda4, v5
	v_add_f32_e32 v30, v30, v32
	v_fma_f32 v31, 0x3ed4b147, v42, -v37
	v_fmac_f32_e32 v37, 0x3ed4b147, v42
	v_mul_f32_e32 v32, 0xbf0a6770, v41
	v_add_f32_e32 v27, v27, v33
	v_mul_f32_e32 v43, 0xbf0a6770, v5
	v_add_f32_e32 v31, v31, v39
	v_add_f32_e32 v19, v37, v19
	v_fma_f32 v39, 0x3f575c64, v42, -v32
	v_fmamk_f32 v33, v10, 0x3ed4b147, v38
	v_dual_fmamk_f32 v37, v10, 0x3f575c64, v43 :: v_dual_fmac_f32 v32, 0x3f575c64, v42
	s_delay_alu instid0(VALU_DEP_3) | instskip(NEXT) | instid1(VALU_DEP_3)
	v_dual_mul_f32 v5, 0xbf4178ce, v5 :: v_dual_add_f32 v34, v39, v34
	v_add_f32_e32 v33, v33, v40
	v_fma_f32 v38, 0x3ed4b147, v10, -v38
	s_delay_alu instid0(VALU_DEP_4)
	v_add_f32_e32 v24, v37, v24
	v_fma_f32 v39, 0x3f575c64, v10, -v43
	v_add_f32_e32 v32, v32, v36
	v_sub_f32_e32 v36, v12, v18
	v_add_f32_e32 v22, v38, v22
	v_mul_f32_e32 v38, 0xbf4178ce, v41
	v_dual_fmamk_f32 v40, v10, 0xbf27a4f4, v5 :: v_dual_add_f32 v25, v39, v25
	v_fma_f32 v5, 0xbf27a4f4, v10, -v5
	v_add_f32_e32 v10, v12, v18
	s_delay_alu instid0(VALU_DEP_4) | instskip(NEXT) | instid1(VALU_DEP_1)
	v_fma_f32 v37, 0xbf27a4f4, v42, -v38
	v_add_f32_e32 v35, v37, v35
	v_dual_add_f32 v29, v40, v29 :: v_dual_fmac_f32 v38, 0xbf27a4f4, v42
	v_add_f32_e32 v37, v9, v15
	s_delay_alu instid0(VALU_DEP_2) | instskip(NEXT) | instid1(VALU_DEP_1)
	v_dual_sub_f32 v9, v9, v15 :: v_dual_add_f32 v4, v38, v4
	v_dual_mul_f32 v15, 0xbf4178ce, v36 :: v_dual_mul_f32 v12, 0xbf4178ce, v9
	v_add_f32_e32 v5, v5, v17
	s_delay_alu instid0(VALU_DEP_2) | instskip(NEXT) | instid1(VALU_DEP_3)
	v_fma_f32 v18, 0xbf27a4f4, v37, -v15
	v_fmamk_f32 v38, v10, 0xbf27a4f4, v12
	v_mul_f32_e32 v17, 0x3f7d64f0, v36
	v_fmac_f32_e32 v15, 0xbf27a4f4, v37
	v_fma_f32 v12, 0xbf27a4f4, v10, -v12
	v_add_f32_e32 v18, v18, v20
	v_add_f32_e32 v6, v38, v6
	v_fma_f32 v20, 0xbe11bafb, v37, -v17
	v_mul_f32_e32 v38, 0x3f7d64f0, v9
	v_dual_add_f32 v15, v15, v21 :: v_dual_add_f32 v12, v12, v23
	s_delay_alu instid0(VALU_DEP_3) | instskip(NEXT) | instid1(VALU_DEP_1)
	v_dual_mul_f32 v21, 0xbf0a6770, v36 :: v_dual_add_f32 v20, v20, v26
	v_fma_f32 v39, 0x3f575c64, v37, -v21
	s_delay_alu instid0(VALU_DEP_4) | instskip(NEXT) | instid1(VALU_DEP_1)
	v_fmamk_f32 v23, v10, 0xbe11bafb, v38
	v_add_f32_e32 v23, v23, v28
	s_delay_alu instid0(VALU_DEP_3) | instskip(SKIP_1) | instid1(VALU_DEP_1)
	v_add_f32_e32 v28, v39, v31
	v_fma_f32 v26, 0xbe11bafb, v10, -v38
	v_dual_fmac_f32 v17, 0xbe11bafb, v37 :: v_dual_add_f32 v26, v26, v27
	s_delay_alu instid0(VALU_DEP_1) | instskip(NEXT) | instid1(VALU_DEP_1)
	v_dual_mul_f32 v38, 0xbf0a6770, v9 :: v_dual_add_f32 v17, v17, v30
	v_fmamk_f32 v27, v10, 0x3f575c64, v38
	v_mul_f32_e32 v30, 0xbe903f40, v36
	v_fma_f32 v31, 0x3f575c64, v10, -v38
	s_delay_alu instid0(VALU_DEP_3) | instskip(NEXT) | instid1(VALU_DEP_3)
	v_add_f32_e32 v27, v27, v33
	v_fma_f32 v38, 0xbf75a155, v37, -v30
	v_fmac_f32_e32 v21, 0x3f575c64, v37
	v_fmac_f32_e32 v30, 0xbf75a155, v37
	v_mul_f32_e32 v33, 0xbe903f40, v9
	s_delay_alu instid0(VALU_DEP_4) | instskip(NEXT) | instid1(VALU_DEP_4)
	v_dual_mul_f32 v9, 0x3f68dda4, v9 :: v_dual_add_f32 v34, v38, v34
	v_add_f32_e32 v19, v21, v19
	v_dual_add_f32 v21, v31, v22 :: v_dual_mul_f32 v22, 0x3f68dda4, v36
	v_add_f32_e32 v30, v30, v32
	v_fmamk_f32 v31, v10, 0xbf75a155, v33
	v_fma_f32 v33, 0xbf75a155, v10, -v33
	v_sub_f32_e32 v32, v14, v16
	v_fma_f32 v36, 0x3ed4b147, v37, -v22
	v_fmac_f32_e32 v22, 0x3ed4b147, v37
	s_delay_alu instid0(VALU_DEP_2)
	v_dual_add_f32 v24, v31, v24 :: v_dual_add_f32 v31, v36, v35
	v_sub_f32_e32 v35, v11, v13
	v_dual_add_f32 v36, v11, v13 :: v_dual_mul_f32 v11, 0xbe903f40, v32
	v_add_f32_e32 v37, v14, v16
	v_dual_mul_f32 v14, 0x3f0a6770, v32 :: v_dual_add_f32 v25, v33, v25
	v_fmamk_f32 v33, v10, 0x3ed4b147, v9
	v_fma_f32 v9, 0x3ed4b147, v10, -v9
	v_mul_f32_e32 v10, 0xbe903f40, v35
	v_fma_f32 v13, 0xbf75a155, v36, -v11
	s_delay_alu instid0(VALU_DEP_3) | instskip(NEXT) | instid1(VALU_DEP_3)
	v_add_f32_e32 v38, v9, v5
	v_fmamk_f32 v5, v37, 0xbf75a155, v10
	v_add_f32_e32 v29, v33, v29
	s_delay_alu instid0(VALU_DEP_4) | instskip(SKIP_1) | instid1(VALU_DEP_4)
	v_dual_add_f32 v33, v22, v4 :: v_dual_add_f32 v4, v13, v18
	v_fmac_f32_e32 v11, 0xbf75a155, v36
	v_dual_add_f32 v5, v5, v6 :: v_dual_mul_f32 v18, 0xbf4178ce, v32
	v_fma_f32 v6, 0x3f575c64, v36, -v14
	v_mul_f32_e32 v13, 0x3f0a6770, v35
	s_delay_alu instid0(VALU_DEP_4) | instskip(NEXT) | instid1(VALU_DEP_4)
	v_dual_add_f32 v9, v11, v15 :: v_dual_fmac_f32 v14, 0x3f575c64, v36
	v_fma_f32 v16, 0xbf27a4f4, v36, -v18
	s_delay_alu instid0(VALU_DEP_4) | instskip(SKIP_4) | instid1(VALU_DEP_4)
	v_dual_add_f32 v11, v6, v20 :: v_dual_mul_f32 v20, 0xbf4178ce, v35
	v_fma_f32 v10, 0xbf75a155, v37, -v10
	v_fmamk_f32 v6, v37, 0x3f575c64, v13
	v_fma_f32 v15, 0x3f575c64, v37, -v13
	v_dual_add_f32 v13, v14, v17 :: v_dual_mul_f32 v22, 0x3f68dda4, v32
	v_add_f32_e32 v10, v10, v12
	s_delay_alu instid0(VALU_DEP_4) | instskip(SKIP_4) | instid1(VALU_DEP_4)
	v_add_f32_e32 v12, v6, v23
	v_fmamk_f32 v6, v37, 0xbf27a4f4, v20
	v_dual_add_f32 v14, v15, v26 :: v_dual_add_f32 v15, v16, v28
	v_fma_f32 v20, 0xbf27a4f4, v37, -v20
	v_mul_f32_e32 v23, 0x3f68dda4, v35
	v_add_f32_e32 v16, v6, v27
	v_fma_f32 v6, 0x3ed4b147, v36, -v22
	v_fmac_f32_e32 v18, 0xbf27a4f4, v36
	s_delay_alu instid0(VALU_DEP_1) | instskip(SKIP_1) | instid1(VALU_DEP_4)
	v_dual_fmac_f32 v22, 0x3ed4b147, v36 :: v_dual_add_f32 v17, v18, v19
	v_add_f32_e32 v18, v20, v21
	v_dual_fmamk_f32 v20, v37, 0x3ed4b147, v23 :: v_dual_add_f32 v19, v6, v34
	s_delay_alu instid0(VALU_DEP_3) | instskip(NEXT) | instid1(VALU_DEP_2)
	v_dual_mul_f32 v6, 0xbf7d64f0, v32 :: v_dual_add_f32 v21, v22, v30
	v_add_f32_e32 v20, v20, v24
	v_fma_f32 v22, 0x3ed4b147, v37, -v23
	s_delay_alu instid0(VALU_DEP_3) | instskip(SKIP_2) | instid1(VALU_DEP_3)
	v_fma_f32 v23, 0xbe11bafb, v36, -v6
	v_fmac_f32_e32 v6, 0xbe11bafb, v36
	v_mul_f32_e32 v26, 0xbf7d64f0, v35
	v_dual_add_f32 v22, v22, v25 :: v_dual_add_f32 v23, v23, v31
	s_delay_alu instid0(VALU_DEP_2) | instskip(SKIP_1) | instid1(VALU_DEP_2)
	v_dual_add_f32 v25, v6, v33 :: v_dual_fmamk_f32 v24, v37, 0xbe11bafb, v26
	v_fma_f32 v26, 0xbe11bafb, v37, -v26
	v_add_f32_e32 v24, v24, v29
	s_delay_alu instid0(VALU_DEP_2)
	v_add_f32_e32 v26, v26, v38
	ds_store_2addr_b64 v1, v[2:3], v[4:5] offset1:11
	ds_store_2addr_b64 v1, v[11:12], v[15:16] offset0:22 offset1:33
	ds_store_2addr_b64 v1, v[19:20], v[23:24] offset0:44 offset1:55
	;; [unrolled: 1-line block ×4, first 2 shown]
	ds_store_b64 v1, v[9:10] offset:880
	global_wb scope:SCOPE_SE
	s_wait_dscnt 0x0
	s_barrier_signal -1
	s_barrier_wait -1
	global_inv scope:SCOPE_SE
	s_cbranch_vccnz .LBB0_11
; %bb.8:
	v_mad_co_u64_u32 v[4:5], null, s8, v8, 0
	v_mul_lo_u32 v1, s2, v7
	s_mul_i32 s4, s2, 11
	s_lshl_b64 s[14:15], s[10:11], 3
	s_mov_b32 s3, 0
	s_add_nc_u64 s[14:15], s[0:1], s[14:15]
	s_mov_b32 s7, exec_lo
	s_delay_alu instid0(VALU_DEP_2) | instskip(NEXT) | instid1(VALU_DEP_1)
	v_dual_mov_b32 v3, v5 :: v_dual_mov_b32 v2, 0
	v_mad_co_u64_u32 v[5:6], null, s9, v8, v[3:4]
	v_mul_u32_u24_e32 v3, 0x3d0, v8
	v_lshlrev_b32_e32 v6, 3, v7
	s_delay_alu instid0(VALU_DEP_4) | instskip(SKIP_1) | instid1(VALU_DEP_3)
	v_lshlrev_b64_e32 v[15:16], 3, v[1:2]
	v_add_nc_u32_e32 v1, s4, v1
	v_add3_u32 v3, 0, v3, v6
	v_lshlrev_b64_e32 v[4:5], 3, v[4:5]
	s_delay_alu instid0(VALU_DEP_3)
	v_lshlrev_b64_e32 v[17:18], 3, v[1:2]
	v_add_nc_u32_e32 v1, s4, v1
	ds_load_2addr_b64 v[11:14], v3 offset1:11
	v_add_co_u32 v9, vcc_lo, s14, v4
	s_wait_alu 0xfffd
	v_add_co_ci_u32_e32 v10, vcc_lo, s15, v5, vcc_lo
	v_lshlrev_b64_e32 v[19:20], 3, v[1:2]
	s_delay_alu instid0(VALU_DEP_3)
	v_add_co_u32 v4, vcc_lo, v9, v15
	v_add_nc_u32_e32 v1, s4, v1
	s_wait_alu 0xfffd
	v_add_co_ci_u32_e32 v5, vcc_lo, v10, v16, vcc_lo
	v_add_co_u32 v21, vcc_lo, v9, v17
	s_wait_alu 0xfffd
	v_add_co_ci_u32_e32 v22, vcc_lo, v10, v18, vcc_lo
	v_lshlrev_b64_e32 v[23:24], 3, v[1:2]
	v_add_nc_u32_e32 v1, s4, v1
	ds_load_2addr_b64 v[15:18], v3 offset0:22 offset1:33
	s_wait_dscnt 0x1
	s_clause 0x1
	global_store_b64 v[4:5], v[11:12], off
	global_store_b64 v[21:22], v[13:14], off
	v_add_co_u32 v4, vcc_lo, v9, v19
	s_wait_alu 0xfffd
	v_add_co_ci_u32_e32 v5, vcc_lo, v10, v20, vcc_lo
	v_lshlrev_b64_e32 v[19:20], 3, v[1:2]
	v_add_nc_u32_e32 v1, s4, v1
	ds_load_2addr_b64 v[11:14], v3 offset0:44 offset1:55
	v_add_co_u32 v23, vcc_lo, v9, v23
	s_wait_alu 0xfffd
	v_add_co_ci_u32_e32 v24, vcc_lo, v10, v24, vcc_lo
	v_lshlrev_b64_e32 v[21:22], 3, v[1:2]
	v_add_co_u32 v25, vcc_lo, v9, v19
	s_wait_alu 0xfffd
	v_add_co_ci_u32_e32 v26, vcc_lo, v10, v20, vcc_lo
	v_add_nc_u32_e32 v1, s4, v1
	s_delay_alu instid0(VALU_DEP_4)
	v_add_co_u32 v27, vcc_lo, v9, v21
	s_wait_alu 0xfffd
	v_add_co_ci_u32_e32 v28, vcc_lo, v10, v22, vcc_lo
	ds_load_2addr_b64 v[19:22], v3 offset0:66 offset1:77
	v_lshlrev_b64_e32 v[29:30], 3, v[1:2]
	v_add_nc_u32_e32 v1, s4, v1
	s_wait_dscnt 0x2
	s_clause 0x1
	global_store_b64 v[4:5], v[15:16], off
	global_store_b64 v[23:24], v[17:18], off
	s_wait_dscnt 0x1
	s_clause 0x1
	global_store_b64 v[25:26], v[11:12], off
	global_store_b64 v[27:28], v[13:14], off
	ds_load_2addr_b64 v[11:14], v3 offset0:88 offset1:99
	v_lshlrev_b64_e32 v[4:5], 3, v[1:2]
	v_add_co_u32 v15, vcc_lo, v9, v29
	s_wait_alu 0xfffd
	v_add_co_ci_u32_e32 v16, vcc_lo, v10, v30, vcc_lo
	v_add_nc_u32_e32 v1, s4, v1
	s_delay_alu instid0(VALU_DEP_4) | instskip(SKIP_2) | instid1(VALU_DEP_3)
	v_add_co_u32 v4, vcc_lo, v9, v4
	s_wait_alu 0xfffd
	v_add_co_ci_u32_e32 v5, vcc_lo, v10, v5, vcc_lo
	v_lshlrev_b64_e32 v[17:18], 3, v[1:2]
	v_add_nc_u32_e32 v1, s4, v1
	s_wait_dscnt 0x1
	s_clause 0x1
	global_store_b64 v[15:16], v[19:20], off
	global_store_b64 v[4:5], v[21:22], off
	ds_load_b64 v[4:5], v3 offset:880
	v_lshlrev_b64_e32 v[15:16], 3, v[1:2]
	v_add_nc_u32_e32 v1, s4, v1
	v_add_co_u32 v17, vcc_lo, v9, v17
	s_wait_alu 0xfffd
	v_add_co_ci_u32_e32 v18, vcc_lo, v10, v18, vcc_lo
	s_delay_alu instid0(VALU_DEP_3) | instskip(SKIP_3) | instid1(VALU_DEP_3)
	v_lshlrev_b64_e32 v[19:20], 3, v[1:2]
	v_add_co_u32 v15, vcc_lo, v9, v15
	s_wait_alu 0xfffd
	v_add_co_ci_u32_e32 v16, vcc_lo, v10, v16, vcc_lo
	v_add_co_u32 v19, vcc_lo, v9, v19
	s_wait_alu 0xfffd
	v_add_co_ci_u32_e32 v20, vcc_lo, v10, v20, vcc_lo
	s_wait_dscnt 0x1
	s_clause 0x1
	global_store_b64 v[17:18], v[11:12], off
	global_store_b64 v[15:16], v[13:14], off
	s_wait_dscnt 0x0
	global_store_b64 v[19:20], v[4:5], off
                                        ; implicit-def: $vgpr4
                                        ; implicit-def: $vgpr5_vgpr6
	v_cmpx_gt_u32_e32 11, v0
	s_cbranch_execz .LBB0_10
; %bb.9:
	ds_load_b64 v[3:4], v3 offset:968
	v_add_nc_u32_e32 v1, s4, v1
	s_mov_b32 s5, exec_lo
	s_delay_alu instid0(VALU_DEP_1) | instskip(NEXT) | instid1(VALU_DEP_1)
	v_lshlrev_b64_e32 v[1:2], 3, v[1:2]
	v_add_co_u32 v5, vcc_lo, v9, v1
	s_wait_alu 0xfffd
	s_delay_alu instid0(VALU_DEP_2)
	v_add_co_ci_u32_e32 v6, vcc_lo, v10, v2, vcc_lo
	s_wait_dscnt 0x0
	global_store_b32 v[5:6], v3, off
.LBB0_10:
	s_wait_alu 0xfffe
	s_or_b32 exec_lo, exec_lo, s7
	s_delay_alu instid0(SALU_CYCLE_1)
	s_and_b32 vcc_lo, exec_lo, s3
	s_wait_alu 0xfffe
	s_cbranch_vccnz .LBB0_12
	s_branch .LBB0_17
.LBB0_11:
                                        ; implicit-def: $vgpr4
                                        ; implicit-def: $vgpr5_vgpr6
	s_cbranch_execz .LBB0_17
.LBB0_12:
	v_add_nc_u32_e32 v1, s6, v8
	s_mov_b32 s3, exec_lo
                                        ; implicit-def: $vgpr4
                                        ; implicit-def: $vgpr5_vgpr6
	s_delay_alu instid0(VALU_DEP_1)
	v_cmpx_gt_u32_e64 s12, v1
	s_cbranch_execz .LBB0_16
; %bb.13:
	v_mad_co_u64_u32 v[4:5], null, s8, v8, 0
	v_mov_b32_e32 v2, 0
	v_mul_lo_u32 v1, s2, v7
	s_mul_i32 s2, s2, 11
	s_lshl_b64 s[6:7], s[10:11], 3
	s_wait_alu 0xfffe
	s_add_nc_u64 s[0:1], s[0:1], s[6:7]
	s_delay_alu instid0(VALU_DEP_3) | instskip(NEXT) | instid1(VALU_DEP_2)
	v_mov_b32_e32 v3, v5
	v_lshlrev_b64_e32 v[21:22], 3, v[1:2]
	v_add_nc_u32_e32 v1, s2, v1
	s_delay_alu instid0(VALU_DEP_3) | instskip(SKIP_1) | instid1(VALU_DEP_3)
	v_mad_co_u64_u32 v[5:6], null, s9, v8, v[3:4]
	v_mad_u32_u24 v3, 0x3d0, v8, 0
	v_lshlrev_b64_e32 v[23:24], 3, v[1:2]
	v_add_nc_u32_e32 v1, s2, v1
	s_delay_alu instid0(VALU_DEP_3)
	v_lshl_add_u32 v6, v7, 3, v3
	v_lshlrev_b64_e32 v[4:5], 3, v[4:5]
	ds_load_2addr_b64 v[9:12], v6 offset1:11
	ds_load_2addr_b64 v[13:16], v6 offset0:22 offset1:33
	ds_load_2addr_b64 v[17:20], v6 offset0:44 offset1:55
	v_lshlrev_b64_e32 v[25:26], 3, v[1:2]
	v_add_co_u32 v7, vcc_lo, s0, v4
	s_wait_alu 0xfffd
	v_add_co_ci_u32_e32 v8, vcc_lo, s1, v5, vcc_lo
	v_add_nc_u32_e32 v1, s2, v1
	s_delay_alu instid0(VALU_DEP_3) | instskip(SKIP_1) | instid1(VALU_DEP_3)
	v_add_co_u32 v4, vcc_lo, v7, v21
	s_wait_alu 0xfffd
	v_add_co_ci_u32_e32 v5, vcc_lo, v8, v22, vcc_lo
	v_add_co_u32 v21, vcc_lo, v7, v23
	v_lshlrev_b64_e32 v[27:28], 3, v[1:2]
	v_add_nc_u32_e32 v1, s2, v1
	s_wait_alu 0xfffd
	v_add_co_ci_u32_e32 v22, vcc_lo, v8, v24, vcc_lo
	v_add_co_u32 v23, vcc_lo, v7, v25
	s_wait_dscnt 0x2
	s_clause 0x1
	global_store_b64 v[4:5], v[9:10], off
	global_store_b64 v[21:22], v[11:12], off
	v_lshlrev_b64_e32 v[4:5], 3, v[1:2]
	s_wait_alu 0xfffd
	v_add_co_ci_u32_e32 v24, vcc_lo, v8, v26, vcc_lo
	v_add_co_u32 v9, vcc_lo, v7, v27
	s_wait_alu 0xfffd
	v_add_co_ci_u32_e32 v10, vcc_lo, v8, v28, vcc_lo
	v_add_nc_u32_e32 v1, s2, v1
	v_add_co_u32 v4, vcc_lo, v7, v4
	s_wait_alu 0xfffd
	v_add_co_ci_u32_e32 v5, vcc_lo, v8, v5, vcc_lo
	s_delay_alu instid0(VALU_DEP_3)
	v_lshlrev_b64_e32 v[21:22], 3, v[1:2]
	v_add_nc_u32_e32 v1, s2, v1
	s_wait_dscnt 0x1
	s_clause 0x1
	global_store_b64 v[23:24], v[13:14], off
	global_store_b64 v[9:10], v[15:16], off
	s_wait_dscnt 0x0
	global_store_b64 v[4:5], v[17:18], off
	ds_load_2addr_b64 v[9:12], v6 offset0:66 offset1:77
	s_mul_hi_u32 s0, s12, 0xba2e8ba3
	s_mov_b32 s1, s5
	v_lshlrev_b64_e32 v[4:5], 3, v[1:2]
	v_add_nc_u32_e32 v1, s2, v1
	v_add_co_u32 v13, vcc_lo, v7, v21
	s_wait_alu 0xfffd
	v_add_co_ci_u32_e32 v14, vcc_lo, v8, v22, vcc_lo
	s_delay_alu instid0(VALU_DEP_3) | instskip(SKIP_4) | instid1(VALU_DEP_4)
	v_lshlrev_b64_e32 v[15:16], 3, v[1:2]
	v_add_co_u32 v4, vcc_lo, v7, v4
	v_add_nc_u32_e32 v1, s2, v1
	s_wait_alu 0xfffd
	v_add_co_ci_u32_e32 v5, vcc_lo, v8, v5, vcc_lo
	v_add_co_u32 v15, vcc_lo, v7, v15
	s_wait_alu 0xfffd
	v_add_co_ci_u32_e32 v16, vcc_lo, v8, v16, vcc_lo
	v_lshlrev_b64_e32 v[17:18], 3, v[1:2]
	v_add_nc_u32_e32 v1, s2, v1
	global_store_b64 v[13:14], v[19:20], off
	s_wait_dscnt 0x0
	s_clause 0x1
	global_store_b64 v[4:5], v[9:10], off
	global_store_b64 v[15:16], v[11:12], off
	ds_load_2addr_b64 v[9:12], v6 offset0:88 offset1:99
	ds_load_b64 v[13:14], v6 offset:880
	s_wait_alu 0xfffe
	s_lshr_b32 s0, s0, 3
	v_lshlrev_b64_e32 v[4:5], 3, v[1:2]
	v_add_nc_u32_e32 v1, s2, v1
	v_add_co_u32 v15, vcc_lo, v7, v17
	s_wait_alu 0xfffd
	v_add_co_ci_u32_e32 v16, vcc_lo, v8, v18, vcc_lo
	s_delay_alu instid0(VALU_DEP_3)
	v_lshlrev_b64_e32 v[17:18], 3, v[1:2]
	v_add_co_u32 v4, vcc_lo, v7, v4
	s_wait_alu 0xfffe
	s_mul_i32 s0, s0, 11
	s_wait_alu 0xfffd
	v_add_co_ci_u32_e32 v5, vcc_lo, v8, v5, vcc_lo
	v_add_co_u32 v17, vcc_lo, v7, v17
	s_wait_alu 0xfffe
	s_sub_co_i32 s0, s12, s0
	s_wait_alu 0xfffd
	v_add_co_ci_u32_e32 v18, vcc_lo, v8, v18, vcc_lo
	s_wait_alu 0xfffe
	v_cmp_gt_u32_e32 vcc_lo, s0, v0
	s_wait_dscnt 0x1
	s_clause 0x1
	global_store_b64 v[15:16], v[9:10], off
	global_store_b64 v[4:5], v[11:12], off
                                        ; implicit-def: $vgpr4
                                        ; implicit-def: $vgpr5_vgpr6
	s_wait_dscnt 0x0
	global_store_b64 v[17:18], v[13:14], off
	s_and_saveexec_b32 s0, vcc_lo
	s_cbranch_execz .LBB0_15
; %bb.14:
	ds_load_b64 v[3:4], v3 offset:968
	v_add_nc_u32_e32 v1, s2, v1
	s_or_b32 s1, s5, exec_lo
	s_delay_alu instid0(VALU_DEP_1) | instskip(NEXT) | instid1(VALU_DEP_1)
	v_lshlrev_b64_e32 v[0:1], 3, v[1:2]
	v_add_co_u32 v5, vcc_lo, v7, v0
	s_wait_alu 0xfffd
	s_delay_alu instid0(VALU_DEP_2)
	v_add_co_ci_u32_e32 v6, vcc_lo, v8, v1, vcc_lo
	s_wait_dscnt 0x0
	global_store_b32 v[5:6], v3, off
.LBB0_15:
	s_wait_alu 0xfffe
	s_or_b32 exec_lo, exec_lo, s0
	s_delay_alu instid0(SALU_CYCLE_1)
	s_and_not1_b32 s0, s5, exec_lo
	s_and_b32 s1, s1, exec_lo
	s_wait_alu 0xfffe
	s_or_b32 s5, s0, s1
.LBB0_16:
	s_wait_alu 0xfffe
	s_or_b32 exec_lo, exec_lo, s3
.LBB0_17:
	s_and_saveexec_b32 s0, s5
	s_cbranch_execnz .LBB0_19
; %bb.18:
	s_nop 0
	s_sendmsg sendmsg(MSG_DEALLOC_VGPRS)
	s_endpgm
.LBB0_19:
	global_store_b32 v[5:6], v4, off offset:4
	s_nop 0
	s_sendmsg sendmsg(MSG_DEALLOC_VGPRS)
	s_endpgm
	.section	.rodata,"a",@progbits
	.p2align	6, 0x0
	.amdhsa_kernel fft_rtc_fwd_len121_factors_11_11_wgs_121_tpt_11_sp_op_CI_CI_sbrc_erc_z_xy_unaligned
		.amdhsa_group_segment_fixed_size 0
		.amdhsa_private_segment_fixed_size 0
		.amdhsa_kernarg_size 104
		.amdhsa_user_sgpr_count 2
		.amdhsa_user_sgpr_dispatch_ptr 0
		.amdhsa_user_sgpr_queue_ptr 0
		.amdhsa_user_sgpr_kernarg_segment_ptr 1
		.amdhsa_user_sgpr_dispatch_id 0
		.amdhsa_user_sgpr_private_segment_size 0
		.amdhsa_wavefront_size32 1
		.amdhsa_uses_dynamic_stack 0
		.amdhsa_enable_private_segment 0
		.amdhsa_system_sgpr_workgroup_id_x 1
		.amdhsa_system_sgpr_workgroup_id_y 0
		.amdhsa_system_sgpr_workgroup_id_z 0
		.amdhsa_system_sgpr_workgroup_info 0
		.amdhsa_system_vgpr_workitem_id 0
		.amdhsa_next_free_vgpr 64
		.amdhsa_next_free_sgpr 30
		.amdhsa_reserve_vcc 1
		.amdhsa_float_round_mode_32 0
		.amdhsa_float_round_mode_16_64 0
		.amdhsa_float_denorm_mode_32 3
		.amdhsa_float_denorm_mode_16_64 3
		.amdhsa_fp16_overflow 0
		.amdhsa_workgroup_processor_mode 1
		.amdhsa_memory_ordered 1
		.amdhsa_forward_progress 0
		.amdhsa_round_robin_scheduling 0
		.amdhsa_exception_fp_ieee_invalid_op 0
		.amdhsa_exception_fp_denorm_src 0
		.amdhsa_exception_fp_ieee_div_zero 0
		.amdhsa_exception_fp_ieee_overflow 0
		.amdhsa_exception_fp_ieee_underflow 0
		.amdhsa_exception_fp_ieee_inexact 0
		.amdhsa_exception_int_div_zero 0
	.end_amdhsa_kernel
	.text
.Lfunc_end0:
	.size	fft_rtc_fwd_len121_factors_11_11_wgs_121_tpt_11_sp_op_CI_CI_sbrc_erc_z_xy_unaligned, .Lfunc_end0-fft_rtc_fwd_len121_factors_11_11_wgs_121_tpt_11_sp_op_CI_CI_sbrc_erc_z_xy_unaligned
                                        ; -- End function
	.section	.AMDGPU.csdata,"",@progbits
; Kernel info:
; codeLenInByte = 7856
; NumSgprs: 32
; NumVgprs: 64
; ScratchSize: 0
; MemoryBound: 0
; FloatMode: 240
; IeeeMode: 1
; LDSByteSize: 0 bytes/workgroup (compile time only)
; SGPRBlocks: 3
; VGPRBlocks: 7
; NumSGPRsForWavesPerEU: 32
; NumVGPRsForWavesPerEU: 64
; Occupancy: 16
; WaveLimiterHint : 1
; COMPUTE_PGM_RSRC2:SCRATCH_EN: 0
; COMPUTE_PGM_RSRC2:USER_SGPR: 2
; COMPUTE_PGM_RSRC2:TRAP_HANDLER: 0
; COMPUTE_PGM_RSRC2:TGID_X_EN: 1
; COMPUTE_PGM_RSRC2:TGID_Y_EN: 0
; COMPUTE_PGM_RSRC2:TGID_Z_EN: 0
; COMPUTE_PGM_RSRC2:TIDIG_COMP_CNT: 0
	.text
	.p2alignl 7, 3214868480
	.fill 96, 4, 3214868480
	.type	__hip_cuid_8254baf8e0fb3db1,@object ; @__hip_cuid_8254baf8e0fb3db1
	.section	.bss,"aw",@nobits
	.globl	__hip_cuid_8254baf8e0fb3db1
__hip_cuid_8254baf8e0fb3db1:
	.byte	0                               ; 0x0
	.size	__hip_cuid_8254baf8e0fb3db1, 1

	.ident	"AMD clang version 19.0.0git (https://github.com/RadeonOpenCompute/llvm-project roc-6.4.0 25133 c7fe45cf4b819c5991fe208aaa96edf142730f1d)"
	.section	".note.GNU-stack","",@progbits
	.addrsig
	.addrsig_sym __hip_cuid_8254baf8e0fb3db1
	.amdgpu_metadata
---
amdhsa.kernels:
  - .args:
      - .actual_access:  read_only
        .address_space:  global
        .offset:         0
        .size:           8
        .value_kind:     global_buffer
      - .offset:         8
        .size:           8
        .value_kind:     by_value
      - .actual_access:  read_only
        .address_space:  global
        .offset:         16
        .size:           8
        .value_kind:     global_buffer
      - .actual_access:  read_only
        .address_space:  global
        .offset:         24
        .size:           8
        .value_kind:     global_buffer
      - .actual_access:  read_only
        .address_space:  global
        .offset:         32
        .size:           8
        .value_kind:     global_buffer
      - .offset:         40
        .size:           8
        .value_kind:     by_value
      - .actual_access:  read_only
        .address_space:  global
        .offset:         48
        .size:           8
        .value_kind:     global_buffer
      - .actual_access:  read_only
        .address_space:  global
        .offset:         56
        .size:           8
        .value_kind:     global_buffer
      - .offset:         64
        .size:           4
        .value_kind:     by_value
      - .actual_access:  read_only
        .address_space:  global
        .offset:         72
        .size:           8
        .value_kind:     global_buffer
      - .actual_access:  read_only
        .address_space:  global
        .offset:         80
        .size:           8
        .value_kind:     global_buffer
      - .actual_access:  read_only
        .address_space:  global
        .offset:         88
        .size:           8
        .value_kind:     global_buffer
      - .actual_access:  write_only
        .address_space:  global
        .offset:         96
        .size:           8
        .value_kind:     global_buffer
    .group_segment_fixed_size: 0
    .kernarg_segment_align: 8
    .kernarg_segment_size: 104
    .language:       OpenCL C
    .language_version:
      - 2
      - 0
    .max_flat_workgroup_size: 121
    .name:           fft_rtc_fwd_len121_factors_11_11_wgs_121_tpt_11_sp_op_CI_CI_sbrc_erc_z_xy_unaligned
    .private_segment_fixed_size: 0
    .sgpr_count:     32
    .sgpr_spill_count: 0
    .symbol:         fft_rtc_fwd_len121_factors_11_11_wgs_121_tpt_11_sp_op_CI_CI_sbrc_erc_z_xy_unaligned.kd
    .uniform_work_group_size: 1
    .uses_dynamic_stack: false
    .vgpr_count:     64
    .vgpr_spill_count: 0
    .wavefront_size: 32
    .workgroup_processor_mode: 1
amdhsa.target:   amdgcn-amd-amdhsa--gfx1201
amdhsa.version:
  - 1
  - 2
...

	.end_amdgpu_metadata
